;; amdgpu-corpus repo=llvm/llvm-project kind=harvested arch=n/a opt=n/a
// NOTE: Assertions have been autogenerated by utils/update_mc_test_checks.py UTC_ARGS: --unique --sort --version 6
// RUN: not llvm-mc -triple=amdgcn %s -filetype=null 2>&1 | FileCheck -check-prefix=GCN --implicit-check-not=error: %s
// RUN: not llvm-mc -triple=amdgcn -mcpu=tonga %s -filetype=null 2>&1 | FileCheck -check-prefix=GCN --implicit-check-not=error: %s

v_interp_mov_f32 v11, invalid_param_3, attr0.y
// GCN: :[[@LINE-1]]:23: error: invalid interpolation slot

v_interp_mov_f32 v12, invalid_param_10, attr0.x
// GCN: :[[@LINE-1]]:23: error: invalid interpolation slot

v_interp_mov_f32 v3, invalid_param_3, attr0.x
// GCN: :[[@LINE-1]]:22: error: invalid interpolation slot

v_interp_mov_f32 v8, -1, attr0.x
// GCN: :[[@LINE-1]]:22: error: invalid operand for instruction

v_interp_mov_f32 v8, 0, attr0.x
// GCN: :[[@LINE-1]]:22: error: invalid operand for instruction

v_interp_mov_f32 v8, foo, attr0.x
// GCN: :[[@LINE-1]]:22: error: invalid interpolation slot

v_interp_mov_f32 v8, invalid_param_8, attr0.x
// GCN: :[[@LINE-1]]:22: error: invalid interpolation slot

v_interp_mov_f32 v8, p-1, attr0.x
// GCN: :[[@LINE-1]]:22: error: invalid interpolation slot

v_interp_mov_f32 v8, p1, attr0.x
// GCN: :[[@LINE-1]]:22: error: invalid interpolation slot

v_interp_p1_f32 v0, v1
// GCN: :[[@LINE-1]]:1: error: too few operands for instruction

v_interp_p1_f32 v0, v1, attr33.w
// GCN: :[[@LINE-1]]:25: error: out of bounds interpolation attribute number

v_interp_p1_f32 v0, v1, attr33.x
// GCN: :[[@LINE-1]]:25: error: out of bounds interpolation attribute number

v_interp_p2_f32 v0, v1, att
// GCN: :[[@LINE-1]]:25: error: invalid interpolation attribute

v_interp_p2_f32 v0, v1, attr
// GCN: :[[@LINE-1]]:25: error: invalid or missing interpolation attribute channel

v_interp_p2_f32 v0, v1, attr0.
// GCN: :[[@LINE-1]]:25: error: invalid or missing interpolation attribute channel

v_interp_p2_f32 v0, v1, attr0.q
// GCN: :[[@LINE-1]]:25: error: invalid or missing interpolation attribute channel

v_interp_p2_f32 v0, v1, attr33.x
// GCN: :[[@LINE-1]]:25: error: out of bounds interpolation attribute number

v_interp_p2_f32 v0, v1, attrq
// GCN: :[[@LINE-1]]:25: error: invalid or missing interpolation attribute channel

v_interp_p2_f32 v7, v1, attr-1.x
// GCN: :[[@LINE-1]]:25: error: invalid or missing interpolation attribute channel

v_interp_p2_f32 v7, v1, attr.x
// GCN: :[[@LINE-1]]:25: error: invalid or missing interpolation attribute number

v_interp_p2_f32 v7, v1, attrA.x
// GCN: :[[@LINE-1]]:25: error: invalid or missing interpolation attribute number

v_interp_p2_f32 v9, v1, attr33.x
// GCN: :[[@LINE-1]]:25: error: out of bounds interpolation attribute number
